;; amdgpu-corpus repo=ROCm/rocFFT kind=compiled arch=gfx1030 opt=O3
	.text
	.amdgcn_target "amdgcn-amd-amdhsa--gfx1030"
	.amdhsa_code_object_version 6
	.protected	fft_rtc_fwd_len49_factors_7_7_wgs_196_tpt_7_dim2_dp_op_CI_CI_unitstride_sbrc_unaligned_dirReg ; -- Begin function fft_rtc_fwd_len49_factors_7_7_wgs_196_tpt_7_dim2_dp_op_CI_CI_unitstride_sbrc_unaligned_dirReg
	.globl	fft_rtc_fwd_len49_factors_7_7_wgs_196_tpt_7_dim2_dp_op_CI_CI_unitstride_sbrc_unaligned_dirReg
	.p2align	8
	.type	fft_rtc_fwd_len49_factors_7_7_wgs_196_tpt_7_dim2_dp_op_CI_CI_unitstride_sbrc_unaligned_dirReg,@function
fft_rtc_fwd_len49_factors_7_7_wgs_196_tpt_7_dim2_dp_op_CI_CI_unitstride_sbrc_unaligned_dirReg: ; @fft_rtc_fwd_len49_factors_7_7_wgs_196_tpt_7_dim2_dp_op_CI_CI_unitstride_sbrc_unaligned_dirReg
; %bb.0:
	s_clause 0x2
	s_load_dwordx4 s[0:3], s[4:5], 0x8
	s_load_dwordx2 s[14:15], s[4:5], 0x18
	s_load_dwordx2 s[12:13], s[4:5], 0x50
	s_waitcnt lgkmcnt(0)
	s_load_dword s29, s[0:1], 0x8
	s_load_dwordx4 s[8:11], s[2:3], 0x8
	s_waitcnt lgkmcnt(0)
	s_add_i32 s0, s29, -1
	s_lshr_b32 s0, s0, 2
	s_mul_hi_u32 s0, s0, 0x24924925
	s_add_i32 s7, s0, 1
	s_not_b32 s0, s0
	v_cvt_f32_u32_e32 v1, s7
	v_rcp_iflag_f32_e32 v1, v1
	v_mul_f32_e32 v1, 0x4f7ffffe, v1
	v_cvt_u32_f32_e32 v1, v1
	v_readfirstlane_b32 s1, v1
	v_mul_u32_u24_e32 v1, 0x53a, v0
	s_mul_i32 s0, s0, s1
	v_lshrrev_b32_e32 v3, 16, v1
	s_mul_hi_u32 s0, s1, s0
	s_add_i32 s1, s1, s0
	v_mul_lo_u16 v1, v3, 49
	s_mul_hi_u32 s0, s6, s1
	s_mul_i32 s1, s0, s7
	s_add_i32 s2, s0, 1
	s_sub_i32 s1, s6, s1
	v_sub_nc_u16 v4, v0, v1
	s_sub_i32 s3, s1, s7
	s_cmp_ge_u32 s1, s7
	s_cselect_b32 s0, s2, s0
	s_cselect_b32 s1, s3, s1
	s_add_i32 s2, s0, 1
	s_cmp_ge_u32 s1, s7
	s_cselect_b32 s28, s2, s0
	s_load_dwordx4 s[0:3], s[14:15], 0x8
	s_waitcnt lgkmcnt(0)
	s_mul_i32 s1, s28, s7
	s_mul_i32 s7, s11, s28
	s_sub_i32 s1, s6, s1
	s_mul_hi_u32 s9, s10, s28
	s_mul_i32 s6, s1, 28
	s_mul_i32 s1, s10, s28
	;; [unrolled: 1-line block ×3, first 2 shown]
	s_add_i32 s9, s9, s7
	s_add_u32 s10, s1, s10
	s_addc_u32 s11, s9, 0
	s_add_i32 s1, s6, 28
	s_mov_b32 s9, -1
	s_cmp_le_u32 s1, s29
	s_mov_b32 s7, 0
	s_cselect_b32 s1, -1, 0
	s_and_b32 vcc_lo, exec_lo, s1
	s_cbranch_vccnz .LBB0_5
; %bb.1:
	v_add_nc_u32_e32 v5, s6, v3
	s_mov_b32 s9, exec_lo
	v_cmpx_gt_u32_e64 s29, v5
	s_cbranch_execz .LBB0_4
; %bb.2:
	v_mov_b32_e32 v1, 4
	v_mov_b32_e32 v6, 0x1c0
	s_lshl_b64 s[14:15], s[10:11], 4
	v_lshlrev_b32_e32 v9, 4, v3
	s_add_u32 s14, s12, s14
	v_lshlrev_b32_sdwa v7, v1, v4 dst_sel:DWORD dst_unused:UNUSED_PAD src0_sel:DWORD src1_sel:WORD_0
	v_mul_u32_u24_sdwa v8, v4, v6 dst_sel:DWORD dst_unused:UNUSED_PAD src0_sel:WORD_0 src1_sel:DWORD
	v_mul_lo_u32 v1, v3, s8
	s_addc_u32 s15, s13, s15
	v_mov_b32_e32 v2, 0
	v_add_co_u32 v6, s14, s14, v7
	v_add_co_ci_u32_e64 v7, null, s15, 0, s14
	v_add3_u32 v8, v8, v9, 0
	s_mov_b32 s14, 0
	s_lshl_b32 s15, s8, 2
.LBB0_3:                                ; =>This Inner Loop Header: Depth=1
	v_lshlrev_b64 v[9:10], 4, v[1:2]
	v_add_nc_u32_e32 v5, 4, v5
	v_add_nc_u32_e32 v1, s15, v1
	v_add_co_u32 v9, vcc_lo, v6, v9
	v_add_co_ci_u32_e32 v10, vcc_lo, v7, v10, vcc_lo
	v_cmp_le_u32_e32 vcc_lo, s29, v5
	global_load_dwordx4 v[9:12], v[9:10], off
	s_or_b32 s14, vcc_lo, s14
	s_waitcnt vmcnt(0)
	ds_write_b128 v8, v[9:12]
	v_add_nc_u32_e32 v8, 64, v8
	s_andn2_b32 exec_lo, exec_lo, s14
	s_cbranch_execnz .LBB0_3
.LBB0_4:
	s_or_b32 exec_lo, exec_lo, s9
	s_mov_b32 s9, 0
.LBB0_5:
	s_andn2_b32 vcc_lo, exec_lo, s9
	s_cbranch_vccnz .LBB0_7
; %bb.6:
	v_mul_lo_u32 v1, s8, v3
	v_mov_b32_e32 v5, 4
	s_lshl_b64 s[10:11], s[10:11], 4
	v_mov_b32_e32 v2, 0
	s_add_u32 s9, s12, s10
	s_addc_u32 s10, s13, s11
	s_lshl_b32 s8, s8, 2
	v_lshlrev_b32_sdwa v7, v5, v4 dst_sel:DWORD dst_unused:UNUSED_PAD src0_sel:DWORD src1_sel:WORD_0
	v_lshlrev_b64 v[5:6], 4, v[1:2]
	v_add_nc_u32_e32 v1, s8, v1
	v_add_co_u32 v23, s9, s9, v7
	v_lshlrev_b64 v[7:8], 4, v[1:2]
	v_add_nc_u32_e32 v1, s8, v1
	v_add_co_ci_u32_e64 v24, null, s10, 0, s9
	v_add_co_u32 v5, vcc_lo, v23, v5
	v_lshlrev_b64 v[13:14], 4, v[1:2]
	v_add_nc_u32_e32 v1, s8, v1
	v_add_co_ci_u32_e32 v6, vcc_lo, v24, v6, vcc_lo
	v_add_co_u32 v9, vcc_lo, v23, v7
	v_lshlrev_b64 v[15:16], 4, v[1:2]
	v_add_nc_u32_e32 v1, s8, v1
	v_add_co_ci_u32_e32 v10, vcc_lo, v24, v8, vcc_lo
	v_add_co_u32 v13, vcc_lo, v23, v13
	v_lshlrev_b64 v[17:18], 4, v[1:2]
	v_add_nc_u32_e32 v1, s8, v1
	v_add_co_ci_u32_e32 v14, vcc_lo, v24, v14, vcc_lo
	v_add_co_u32 v19, vcc_lo, v23, v15
	v_add_co_ci_u32_e32 v20, vcc_lo, v24, v16, vcc_lo
	v_lshlrev_b64 v[15:16], 4, v[1:2]
	v_add_nc_u32_e32 v1, s8, v1
	v_add_co_u32 v21, vcc_lo, v23, v17
	v_add_co_ci_u32_e32 v22, vcc_lo, v24, v18, vcc_lo
	v_lshlrev_b64 v[1:2], 4, v[1:2]
	v_add_co_u32 v25, vcc_lo, v23, v15
	v_add_co_ci_u32_e32 v26, vcc_lo, v24, v16, vcc_lo
	s_clause 0x1
	global_load_dwordx4 v[5:8], v[5:6], off
	global_load_dwordx4 v[9:12], v[9:10], off
	v_add_co_u32 v1, vcc_lo, v23, v1
	v_add_co_ci_u32_e32 v2, vcc_lo, v24, v2, vcc_lo
	s_clause 0x4
	global_load_dwordx4 v[13:16], v[13:14], off
	global_load_dwordx4 v[17:20], v[19:20], off
	;; [unrolled: 1-line block ×5, first 2 shown]
	v_mov_b32_e32 v1, 0x1c0
	v_lshlrev_b32_e32 v2, 4, v3
	v_mul_u32_u24_sdwa v1, v4, v1 dst_sel:DWORD dst_unused:UNUSED_PAD src0_sel:WORD_0 src1_sel:DWORD
	v_add3_u32 v1, 0, v1, v2
	s_waitcnt vmcnt(6)
	ds_write_b128 v1, v[5:8]
	s_waitcnt vmcnt(5)
	ds_write_b128 v1, v[9:12] offset:64
	s_waitcnt vmcnt(4)
	ds_write_b128 v1, v[13:16] offset:128
	;; [unrolled: 2-line block ×6, first 2 shown]
.LBB0_7:
	v_mov_b32_e32 v1, 0x925
	v_mul_hi_u32 v3, 0x924924a, v0
	v_mov_b32_e32 v2, 4
	s_waitcnt lgkmcnt(0)
	s_barrier
	v_mul_u32_u24_sdwa v1, v0, v1 dst_sel:DWORD dst_unused:UNUSED_PAD src0_sel:WORD_0 src1_sel:DWORD
	buffer_gl0_inv
	s_mov_b32 s14, 0x37e14327
	s_mov_b32 s18, 0xe976ee23
	v_mul_u32_u24_e32 v4, 0x1c0, v3
	v_lshrrev_b32_e32 v1, 16, v1
	s_mov_b32 s15, 0x3fe948f6
	s_mov_b32 s19, 0xbfe11646
	;; [unrolled: 1-line block ×4, first 2 shown]
	v_mul_lo_u16 v1, v1, 28
	s_mov_b32 s11, 0x3febfeb5
	s_mov_b32 s9, 0x3fac98ee
	;; [unrolled: 1-line block ×4, first 2 shown]
	v_sub_nc_u16 v52, v0, v1
	s_mov_b32 s13, 0xbff2aaaa
	s_mov_b32 s16, 0x5476071b
	;; [unrolled: 1-line block ×4, first 2 shown]
	v_lshlrev_b32_sdwa v1, v2, v52 dst_sel:DWORD dst_unused:UNUSED_PAD src0_sel:DWORD src1_sel:WORD_0
	s_mov_b32 s23, 0xbfe77f67
	s_mov_b32 s27, 0xbfd5d0dc
	;; [unrolled: 1-line block ×4, first 2 shown]
	v_add3_u32 v2, 0, v4, v1
	s_mov_b32 s20, 0x37c3f68c
	s_mov_b32 s21, 0x3fdc38aa
	ds_read_b128 v[4:7], v2 offset:3136
	ds_read_b128 v[8:11], v2 offset:18816
	;; [unrolled: 1-line block ×6, first 2 shown]
	s_waitcnt lgkmcnt(4)
	v_add_f64 v[28:29], v[4:5], v[8:9]
	v_add_f64 v[30:31], v[6:7], v[10:11]
	s_waitcnt lgkmcnt(2)
	v_add_f64 v[32:33], v[16:17], v[12:13]
	v_add_f64 v[34:35], v[18:19], v[14:15]
	v_add_f64 v[12:13], v[16:17], -v[12:13]
	v_add_f64 v[14:15], v[18:19], -v[14:15]
	s_waitcnt lgkmcnt(0)
	v_add_f64 v[16:17], v[24:25], v[20:21]
	v_add_f64 v[18:19], v[26:27], v[22:23]
	v_add_f64 v[20:21], v[20:21], -v[24:25]
	v_add_f64 v[22:23], v[22:23], -v[26:27]
	;; [unrolled: 1-line block ×4, first 2 shown]
	ds_read_b128 v[4:7], v2
	s_waitcnt lgkmcnt(0)
	s_barrier
	buffer_gl0_inv
	v_add_f64 v[24:25], v[32:33], v[28:29]
	v_add_f64 v[26:27], v[34:35], v[30:31]
	v_add_f64 v[36:37], v[28:29], -v[16:17]
	v_add_f64 v[38:39], v[30:31], -v[18:19]
	;; [unrolled: 1-line block ×6, first 2 shown]
	v_add_f64 v[12:13], v[20:21], v[12:13]
	v_add_f64 v[14:15], v[22:23], v[14:15]
	v_add_f64 v[20:21], v[8:9], -v[20:21]
	v_add_f64 v[22:23], v[10:11], -v[22:23]
	;; [unrolled: 1-line block ×4, first 2 shown]
	v_add_f64 v[24:25], v[16:17], v[24:25]
	v_add_f64 v[26:27], v[18:19], v[26:27]
	v_add_f64 v[16:17], v[16:17], -v[32:33]
	v_add_f64 v[18:19], v[18:19], -v[34:35]
	v_mul_f64 v[36:37], v[36:37], s[14:15]
	v_mul_f64 v[38:39], v[38:39], s[14:15]
	;; [unrolled: 1-line block ×6, first 2 shown]
	v_add_f64 v[8:9], v[12:13], v[8:9]
	v_add_f64 v[10:11], v[14:15], v[10:11]
	;; [unrolled: 1-line block ×4, first 2 shown]
	v_mul_f64 v[32:33], v[16:17], s[8:9]
	v_mul_f64 v[34:35], v[18:19], s[8:9]
	v_fma_f64 v[12:13], v[16:17], s[8:9], v[36:37]
	v_fma_f64 v[14:15], v[18:19], s[8:9], v[38:39]
	;; [unrolled: 1-line block ×4, first 2 shown]
	v_fma_f64 v[20:21], v[20:21], s[26:27], -v[48:49]
	v_fma_f64 v[22:23], v[22:23], s[26:27], -v[50:51]
	v_fma_f64 v[36:37], v[28:29], s[22:23], -v[36:37]
	v_fma_f64 v[38:39], v[30:31], s[22:23], -v[38:39]
	v_fma_f64 v[40:41], v[44:45], s[10:11], -v[40:41]
	v_fma_f64 v[42:43], v[46:47], s[10:11], -v[42:43]
	v_fma_f64 v[24:25], v[24:25], s[12:13], v[4:5]
	v_fma_f64 v[26:27], v[26:27], s[12:13], v[6:7]
	v_fma_f64 v[28:29], v[28:29], s[16:17], -v[32:33]
	v_fma_f64 v[30:31], v[30:31], s[16:17], -v[34:35]
	v_fma_f64 v[32:33], v[8:9], s[20:21], v[16:17]
	v_fma_f64 v[34:35], v[10:11], s[20:21], v[18:19]
	;; [unrolled: 1-line block ×6, first 2 shown]
	v_add_f64 v[48:49], v[12:13], v[24:25]
	v_add_f64 v[50:51], v[14:15], v[26:27]
	;; [unrolled: 1-line block ×7, first 2 shown]
	v_add_f64 v[10:11], v[50:51], -v[32:33]
	v_add_f64 v[12:13], v[36:37], v[46:47]
	v_add_f64 v[14:15], v[38:39], -v[44:45]
	v_add_f64 v[16:17], v[20:21], -v[42:43]
	v_add_f64 v[18:19], v[40:41], v[22:23]
	v_add_f64 v[20:21], v[20:21], v[42:43]
	v_add_f64 v[22:23], v[22:23], -v[40:41]
	v_add_f64 v[24:25], v[36:37], -v[46:47]
	v_add_f64 v[26:27], v[44:45], v[38:39]
	v_add_f64 v[28:29], v[48:49], -v[34:35]
	v_add_f64 v[30:31], v[32:33], v[50:51]
	v_add_nc_u32_sdwa v32, s6, v52 dst_sel:DWORD dst_unused:UNUSED_PAD src0_sel:DWORD src1_sel:WORD_0
	v_cmp_gt_u32_e32 vcc_lo, s29, v32
	v_mad_u32_u24 v32, 0xa80, v3, v2
	ds_write_b128 v32, v[4:7]
	ds_write_b128 v32, v[8:11] offset:448
	ds_write_b128 v32, v[12:15] offset:896
	;; [unrolled: 1-line block ×6, first 2 shown]
	s_or_b32 s1, s1, vcc_lo
	s_waitcnt lgkmcnt(0)
	s_barrier
	buffer_gl0_inv
	s_and_saveexec_b32 s29, s1
	s_cbranch_execz .LBB0_9
; %bb.8:
	v_mul_hi_u32 v4, 0x24924925, v3
	s_load_dwordx2 s[30:31], s[4:5], 0x0
	v_mul_hi_u32 v0, 0x14e5e0b, v0
	s_load_dwordx2 s[4:5], s[4:5], 0x58
	s_mul_i32 s1, s3, s28
	s_mul_hi_u32 s3, s2, s28
	s_mul_i32 s2, s2, s28
	s_add_i32 s3, s3, s1
	v_mul_u32_u24_e32 v4, 7, v4
	s_lshl_b64 s[2:3], s[2:3], 4
	v_sub_nc_u32_e32 v55, v3, v4
	v_mul_u32_u24_e32 v3, 6, v55
	v_mad_u32_u24 v0, v0, 49, v55
	s_waitcnt lgkmcnt(0)
	s_add_u32 s1, s4, s2
	v_lshlrev_b32_e32 v23, 4, v3
	s_addc_u32 s4, s5, s3
	s_lshl_b64 s[2:3], s[6:7], 4
	s_clause 0x5
	global_load_dwordx4 v[3:6], v23, s[30:31] offset:16
	global_load_dwordx4 v[7:10], v23, s[30:31] offset:64
	global_load_dwordx4 v[11:14], v23, s[30:31]
	global_load_dwordx4 v[15:18], v23, s[30:31] offset:80
	global_load_dwordx4 v[19:22], v23, s[30:31] offset:48
	global_load_dwordx4 v[23:26], v23, s[30:31] offset:32
	ds_read_b128 v[27:30], v2 offset:6272
	ds_read_b128 v[31:34], v2 offset:15680
	;; [unrolled: 1-line block ×6, first 2 shown]
	s_add_u32 s1, s1, s2
	s_addc_u32 s2, s4, s3
	v_add_co_u32 v55, s1, s1, v1
	v_add_co_ci_u32_e64 v56, null, s2, 0, s1
	s_waitcnt vmcnt(5) lgkmcnt(5)
	v_mul_f64 v[51:52], v[29:30], v[5:6]
	v_mul_f64 v[5:6], v[27:28], v[5:6]
	s_waitcnt vmcnt(4) lgkmcnt(4)
	v_mul_f64 v[53:54], v[33:34], v[9:10]
	v_mul_f64 v[9:10], v[31:32], v[9:10]
	v_fma_f64 v[27:28], v[27:28], v[3:4], -v[51:52]
	v_fma_f64 v[29:30], v[29:30], v[3:4], v[5:6]
	s_waitcnt vmcnt(3) lgkmcnt(3)
	v_mul_f64 v[51:52], v[37:38], v[13:14]
	v_mul_f64 v[13:14], v[35:36], v[13:14]
	v_fma_f64 v[31:32], v[31:32], v[7:8], -v[53:54]
	v_fma_f64 v[6:7], v[33:34], v[7:8], v[9:10]
	s_waitcnt vmcnt(2) lgkmcnt(2)
	v_mul_f64 v[8:9], v[39:40], v[17:18]
	v_mul_f64 v[17:18], v[41:42], v[17:18]
	s_waitcnt vmcnt(1) lgkmcnt(1)
	v_mul_f64 v[33:34], v[45:46], v[21:22]
	s_waitcnt vmcnt(0) lgkmcnt(0)
	v_mul_f64 v[53:54], v[49:50], v[25:26]
	v_mul_f64 v[21:22], v[43:44], v[21:22]
	ds_read_b128 v[2:5], v2
	v_fma_f64 v[35:36], v[35:36], v[11:12], -v[51:52]
	v_fma_f64 v[10:11], v[37:38], v[11:12], v[13:14]
	v_mul_f64 v[12:13], v[47:48], v[25:26]
	v_fma_f64 v[8:9], v[41:42], v[15:16], v[8:9]
	v_fma_f64 v[14:15], v[39:40], v[15:16], -v[17:18]
	v_fma_f64 v[16:17], v[43:44], v[19:20], -v[33:34]
	;; [unrolled: 1-line block ×3, first 2 shown]
	v_fma_f64 v[18:19], v[45:46], v[19:20], v[21:22]
	v_add_f64 v[20:21], v[29:30], v[6:7]
	v_add_f64 v[33:34], v[27:28], v[31:32]
	v_add_f64 v[27:28], v[27:28], -v[31:32]
	v_add_f64 v[6:7], v[29:30], -v[6:7]
	v_fma_f64 v[12:13], v[49:50], v[23:24], v[12:13]
	v_mul_lo_u32 v49, v0, s0
	v_add_f64 v[22:23], v[10:11], v[8:9]
	v_add_f64 v[37:38], v[35:36], v[14:15]
	v_add_f64 v[14:15], v[35:36], -v[14:15]
	v_add_f64 v[39:40], v[16:17], -v[25:26]
	v_add_f64 v[16:17], v[25:26], v[16:17]
	v_add_f64 v[8:9], v[10:11], -v[8:9]
	v_mov_b32_e32 v50, 0
	s_mul_i32 s0, s0, 7
	v_lshlrev_b64 v[53:54], 4, v[49:50]
	v_add_nc_u32_e32 v49, s0, v49
	v_lshlrev_b64 v[0:1], 4, v[49:50]
	v_add_nc_u32_e32 v49, s0, v49
	v_add_f64 v[31:32], v[12:13], v[18:19]
	v_add_f64 v[12:13], v[18:19], -v[12:13]
	v_add_f64 v[10:11], v[20:21], v[22:23]
	v_add_f64 v[18:19], v[33:34], v[37:38]
	v_add_f64 v[43:44], v[27:28], -v[14:15]
	v_add_f64 v[24:25], v[39:40], -v[27:28]
	;; [unrolled: 1-line block ×7, first 2 shown]
	v_add_f64 v[10:11], v[31:32], v[10:11]
	v_add_f64 v[16:17], v[16:17], v[18:19]
	v_add_f64 v[31:32], v[31:32], -v[20:21]
	v_add_f64 v[18:19], v[39:40], v[27:28]
	v_add_f64 v[26:27], v[14:15], -v[39:40]
	;; [unrolled: 2-line block ×3, first 2 shown]
	v_mul_f64 v[24:25], v[24:25], s[18:19]
	v_mul_f64 v[35:36], v[35:36], s[14:15]
	v_add_f64 v[20:21], v[20:21], -v[22:23]
	v_add_f64 v[22:23], v[33:34], -v[37:38]
	v_mul_f64 v[33:34], v[45:46], s[10:11]
	v_mul_f64 v[51:52], v[47:48], s[8:9]
	;; [unrolled: 1-line block ×5, first 2 shown]
	s_waitcnt lgkmcnt(0)
	v_add_f64 v[4:5], v[4:5], v[10:11]
	v_add_f64 v[2:3], v[2:3], v[16:17]
	v_mul_f64 v[37:38], v[31:32], s[8:9]
	v_add_f64 v[14:15], v[18:19], v[14:15]
	v_add_f64 v[6:7], v[6:7], v[8:9]
	v_fma_f64 v[8:9], v[26:27], s[24:25], v[24:25]
	v_fma_f64 v[24:25], v[43:44], s[10:11], -v[24:25]
	v_fma_f64 v[18:19], v[31:32], s[8:9], v[28:29]
	v_fma_f64 v[30:31], v[47:48], s[8:9], v[35:36]
	;; [unrolled: 1-line block ×3, first 2 shown]
	v_fma_f64 v[26:27], v[26:27], s[26:27], -v[41:42]
	v_fma_f64 v[28:29], v[20:21], s[22:23], -v[28:29]
	v_fma_f64 v[10:11], v[10:11], s[12:13], v[4:5]
	v_fma_f64 v[16:17], v[16:17], s[12:13], v[2:3]
	v_fma_f64 v[35:36], v[22:23], s[22:23], -v[35:36]
	v_fma_f64 v[12:13], v[12:13], s[26:27], -v[33:34]
	;; [unrolled: 1-line block ×5, first 2 shown]
	v_fma_f64 v[41:42], v[14:15], s[20:21], v[8:9]
	v_lshlrev_b64 v[39:40], 4, v[49:50]
	v_add_nc_u32_e32 v49, s0, v49
	v_add_co_u32 v37, vcc_lo, v55, v53
	v_add_co_ci_u32_e32 v38, vcc_lo, v56, v54, vcc_lo
	v_add_co_u32 v0, vcc_lo, v55, v0
	v_lshlrev_b64 v[8:9], 4, v[49:50]
	v_add_co_ci_u32_e32 v1, vcc_lo, v56, v1, vcc_lo
	v_fma_f64 v[43:44], v[6:7], s[20:21], v[47:48]
	v_fma_f64 v[26:27], v[14:15], s[20:21], v[26:27]
	;; [unrolled: 1-line block ×3, first 2 shown]
	v_add_f64 v[18:19], v[18:19], v[10:11]
	v_add_f64 v[24:25], v[28:29], v[10:11]
	;; [unrolled: 1-line block ×3, first 2 shown]
	v_fma_f64 v[45:46], v[6:7], s[20:21], v[12:13]
	v_fma_f64 v[6:7], v[6:7], s[20:21], v[32:33]
	v_add_f64 v[32:33], v[35:36], v[16:17]
	v_add_f64 v[10:11], v[20:21], v[10:11]
	;; [unrolled: 1-line block ×3, first 2 shown]
	v_add_co_u32 v39, vcc_lo, v55, v39
	v_add_nc_u32_e32 v49, s0, v49
	v_add_co_ci_u32_e32 v40, vcc_lo, v56, v40, vcc_lo
	v_add_co_u32 v51, vcc_lo, v55, v8
	v_add_co_ci_u32_e32 v52, vcc_lo, v56, v9, vcc_lo
	v_lshlrev_b64 v[47:48], 4, v[49:50]
	v_add_nc_u32_e32 v49, s0, v49
	v_add_f64 v[28:29], v[18:19], -v[41:42]
	v_add_f64 v[12:13], v[26:27], v[24:25]
	v_add_f64 v[24:25], v[24:25], -v[26:27]
	v_add_f64 v[26:27], v[43:44], v[30:31]
	v_add_f64 v[8:9], v[41:42], v[18:19]
	;; [unrolled: 1-line block ×4, first 2 shown]
	v_add_f64 v[18:19], v[34:35], -v[6:7]
	v_add_f64 v[16:17], v[10:11], -v[14:15]
	v_add_f64 v[14:15], v[6:7], v[34:35]
	v_add_f64 v[10:11], v[32:33], -v[45:46]
	v_add_f64 v[6:7], v[30:31], -v[43:44]
	v_lshlrev_b64 v[30:31], 4, v[49:50]
	v_add_nc_u32_e32 v49, s0, v49
	v_add_co_u32 v32, vcc_lo, v55, v47
	v_add_co_ci_u32_e32 v33, vcc_lo, v56, v48, vcc_lo
	v_lshlrev_b64 v[34:35], 4, v[49:50]
	v_add_co_u32 v30, vcc_lo, v55, v30
	v_add_co_ci_u32_e32 v31, vcc_lo, v56, v31, vcc_lo
	v_add_co_u32 v34, vcc_lo, v55, v34
	v_add_co_ci_u32_e32 v35, vcc_lo, v56, v35, vcc_lo
	global_store_dwordx4 v[37:38], v[2:5], off
	global_store_dwordx4 v[0:1], v[26:29], off
	;; [unrolled: 1-line block ×7, first 2 shown]
.LBB0_9:
	s_endpgm
	.section	.rodata,"a",@progbits
	.p2align	6, 0x0
	.amdhsa_kernel fft_rtc_fwd_len49_factors_7_7_wgs_196_tpt_7_dim2_dp_op_CI_CI_unitstride_sbrc_unaligned_dirReg
		.amdhsa_group_segment_fixed_size 0
		.amdhsa_private_segment_fixed_size 0
		.amdhsa_kernarg_size 96
		.amdhsa_user_sgpr_count 6
		.amdhsa_user_sgpr_private_segment_buffer 1
		.amdhsa_user_sgpr_dispatch_ptr 0
		.amdhsa_user_sgpr_queue_ptr 0
		.amdhsa_user_sgpr_kernarg_segment_ptr 1
		.amdhsa_user_sgpr_dispatch_id 0
		.amdhsa_user_sgpr_flat_scratch_init 0
		.amdhsa_user_sgpr_private_segment_size 0
		.amdhsa_wavefront_size32 1
		.amdhsa_uses_dynamic_stack 0
		.amdhsa_system_sgpr_private_segment_wavefront_offset 0
		.amdhsa_system_sgpr_workgroup_id_x 1
		.amdhsa_system_sgpr_workgroup_id_y 0
		.amdhsa_system_sgpr_workgroup_id_z 0
		.amdhsa_system_sgpr_workgroup_info 0
		.amdhsa_system_vgpr_workitem_id 0
		.amdhsa_next_free_vgpr 57
		.amdhsa_next_free_sgpr 32
		.amdhsa_reserve_vcc 1
		.amdhsa_reserve_flat_scratch 0
		.amdhsa_float_round_mode_32 0
		.amdhsa_float_round_mode_16_64 0
		.amdhsa_float_denorm_mode_32 3
		.amdhsa_float_denorm_mode_16_64 3
		.amdhsa_dx10_clamp 1
		.amdhsa_ieee_mode 1
		.amdhsa_fp16_overflow 0
		.amdhsa_workgroup_processor_mode 1
		.amdhsa_memory_ordered 1
		.amdhsa_forward_progress 0
		.amdhsa_shared_vgpr_count 0
		.amdhsa_exception_fp_ieee_invalid_op 0
		.amdhsa_exception_fp_denorm_src 0
		.amdhsa_exception_fp_ieee_div_zero 0
		.amdhsa_exception_fp_ieee_overflow 0
		.amdhsa_exception_fp_ieee_underflow 0
		.amdhsa_exception_fp_ieee_inexact 0
		.amdhsa_exception_int_div_zero 0
	.end_amdhsa_kernel
	.text
.Lfunc_end0:
	.size	fft_rtc_fwd_len49_factors_7_7_wgs_196_tpt_7_dim2_dp_op_CI_CI_unitstride_sbrc_unaligned_dirReg, .Lfunc_end0-fft_rtc_fwd_len49_factors_7_7_wgs_196_tpt_7_dim2_dp_op_CI_CI_unitstride_sbrc_unaligned_dirReg
                                        ; -- End function
	.section	.AMDGPU.csdata,"",@progbits
; Kernel info:
; codeLenInByte = 3260
; NumSgprs: 34
; NumVgprs: 57
; ScratchSize: 0
; MemoryBound: 0
; FloatMode: 240
; IeeeMode: 1
; LDSByteSize: 0 bytes/workgroup (compile time only)
; SGPRBlocks: 4
; VGPRBlocks: 7
; NumSGPRsForWavesPerEU: 34
; NumVGPRsForWavesPerEU: 57
; Occupancy: 16
; WaveLimiterHint : 1
; COMPUTE_PGM_RSRC2:SCRATCH_EN: 0
; COMPUTE_PGM_RSRC2:USER_SGPR: 6
; COMPUTE_PGM_RSRC2:TRAP_HANDLER: 0
; COMPUTE_PGM_RSRC2:TGID_X_EN: 1
; COMPUTE_PGM_RSRC2:TGID_Y_EN: 0
; COMPUTE_PGM_RSRC2:TGID_Z_EN: 0
; COMPUTE_PGM_RSRC2:TIDIG_COMP_CNT: 0
	.text
	.p2alignl 6, 3214868480
	.fill 48, 4, 3214868480
	.type	__hip_cuid_bb7a9a17c0a1d96d,@object ; @__hip_cuid_bb7a9a17c0a1d96d
	.section	.bss,"aw",@nobits
	.globl	__hip_cuid_bb7a9a17c0a1d96d
__hip_cuid_bb7a9a17c0a1d96d:
	.byte	0                               ; 0x0
	.size	__hip_cuid_bb7a9a17c0a1d96d, 1

	.ident	"AMD clang version 19.0.0git (https://github.com/RadeonOpenCompute/llvm-project roc-6.4.0 25133 c7fe45cf4b819c5991fe208aaa96edf142730f1d)"
	.section	".note.GNU-stack","",@progbits
	.addrsig
	.addrsig_sym __hip_cuid_bb7a9a17c0a1d96d
	.amdgpu_metadata
---
amdhsa.kernels:
  - .args:
      - .actual_access:  read_only
        .address_space:  global
        .offset:         0
        .size:           8
        .value_kind:     global_buffer
      - .actual_access:  read_only
        .address_space:  global
        .offset:         8
        .size:           8
        .value_kind:     global_buffer
      - .actual_access:  read_only
        .address_space:  global
        .offset:         16
        .size:           8
        .value_kind:     global_buffer
      - .actual_access:  read_only
        .address_space:  global
        .offset:         24
        .size:           8
        .value_kind:     global_buffer
      - .offset:         32
        .size:           8
        .value_kind:     by_value
      - .actual_access:  read_only
        .address_space:  global
        .offset:         40
        .size:           8
        .value_kind:     global_buffer
      - .actual_access:  read_only
        .address_space:  global
        .offset:         48
        .size:           8
        .value_kind:     global_buffer
      - .offset:         56
        .size:           4
        .value_kind:     by_value
      - .actual_access:  read_only
        .address_space:  global
        .offset:         64
        .size:           8
        .value_kind:     global_buffer
      - .actual_access:  read_only
        .address_space:  global
        .offset:         72
        .size:           8
        .value_kind:     global_buffer
      - .actual_access:  read_only
        .address_space:  global
        .offset:         80
        .size:           8
        .value_kind:     global_buffer
      - .actual_access:  write_only
        .address_space:  global
        .offset:         88
        .size:           8
        .value_kind:     global_buffer
    .group_segment_fixed_size: 0
    .kernarg_segment_align: 8
    .kernarg_segment_size: 96
    .language:       OpenCL C
    .language_version:
      - 2
      - 0
    .max_flat_workgroup_size: 196
    .name:           fft_rtc_fwd_len49_factors_7_7_wgs_196_tpt_7_dim2_dp_op_CI_CI_unitstride_sbrc_unaligned_dirReg
    .private_segment_fixed_size: 0
    .sgpr_count:     34
    .sgpr_spill_count: 0
    .symbol:         fft_rtc_fwd_len49_factors_7_7_wgs_196_tpt_7_dim2_dp_op_CI_CI_unitstride_sbrc_unaligned_dirReg.kd
    .uniform_work_group_size: 1
    .uses_dynamic_stack: false
    .vgpr_count:     57
    .vgpr_spill_count: 0
    .wavefront_size: 32
    .workgroup_processor_mode: 1
amdhsa.target:   amdgcn-amd-amdhsa--gfx1030
amdhsa.version:
  - 1
  - 2
...

	.end_amdgpu_metadata
